;; amdgpu-corpus repo=ROCm/rocFFT kind=compiled arch=gfx1030 opt=O3
	.text
	.amdgcn_target "amdgcn-amd-amdhsa--gfx1030"
	.amdhsa_code_object_version 6
	.protected	fft_rtc_fwd_len320_factors_10_4_4_2_wgs_64_tpt_16_halfLds_sp_op_CI_CI_unitstride_sbrr_dirReg ; -- Begin function fft_rtc_fwd_len320_factors_10_4_4_2_wgs_64_tpt_16_halfLds_sp_op_CI_CI_unitstride_sbrr_dirReg
	.globl	fft_rtc_fwd_len320_factors_10_4_4_2_wgs_64_tpt_16_halfLds_sp_op_CI_CI_unitstride_sbrr_dirReg
	.p2align	8
	.type	fft_rtc_fwd_len320_factors_10_4_4_2_wgs_64_tpt_16_halfLds_sp_op_CI_CI_unitstride_sbrr_dirReg,@function
fft_rtc_fwd_len320_factors_10_4_4_2_wgs_64_tpt_16_halfLds_sp_op_CI_CI_unitstride_sbrr_dirReg: ; @fft_rtc_fwd_len320_factors_10_4_4_2_wgs_64_tpt_16_halfLds_sp_op_CI_CI_unitstride_sbrr_dirReg
; %bb.0:
	s_clause 0x2
	s_load_dwordx4 s[12:15], s[4:5], 0x0
	s_load_dwordx4 s[8:11], s[4:5], 0x58
	;; [unrolled: 1-line block ×3, first 2 shown]
	v_lshrrev_b32_e32 v10, 4, v0
	v_mov_b32_e32 v3, 0
	v_mov_b32_e32 v20, 0
	;; [unrolled: 1-line block ×3, first 2 shown]
	v_lshl_or_b32 v7, s6, 2, v10
	v_mov_b32_e32 v8, v3
	s_waitcnt lgkmcnt(0)
	v_cmp_lt_u64_e64 s0, s[14:15], 2
	s_and_b32 vcc_lo, exec_lo, s0
	s_cbranch_vccnz .LBB0_8
; %bb.1:
	s_load_dwordx2 s[0:1], s[4:5], 0x10
	v_mov_b32_e32 v20, 0
	v_mov_b32_e32 v21, 0
	s_add_u32 s2, s18, 8
	s_addc_u32 s3, s19, 0
	v_mov_b32_e32 v1, v20
	s_add_u32 s6, s16, 8
	v_mov_b32_e32 v2, v21
	s_addc_u32 s7, s17, 0
	s_mov_b64 s[22:23], 1
	s_waitcnt lgkmcnt(0)
	s_add_u32 s20, s0, 8
	s_addc_u32 s21, s1, 0
.LBB0_2:                                ; =>This Inner Loop Header: Depth=1
	s_load_dwordx2 s[24:25], s[20:21], 0x0
                                        ; implicit-def: $vgpr5_vgpr6
	s_mov_b32 s0, exec_lo
	s_waitcnt lgkmcnt(0)
	v_or_b32_e32 v4, s25, v8
	v_cmpx_ne_u64_e32 0, v[3:4]
	s_xor_b32 s1, exec_lo, s0
	s_cbranch_execz .LBB0_4
; %bb.3:                                ;   in Loop: Header=BB0_2 Depth=1
	v_cvt_f32_u32_e32 v4, s24
	v_cvt_f32_u32_e32 v5, s25
	s_sub_u32 s0, 0, s24
	s_subb_u32 s26, 0, s25
	v_fmac_f32_e32 v4, 0x4f800000, v5
	v_rcp_f32_e32 v4, v4
	v_mul_f32_e32 v4, 0x5f7ffffc, v4
	v_mul_f32_e32 v5, 0x2f800000, v4
	v_trunc_f32_e32 v5, v5
	v_fmac_f32_e32 v4, 0xcf800000, v5
	v_cvt_u32_f32_e32 v5, v5
	v_cvt_u32_f32_e32 v4, v4
	v_mul_lo_u32 v6, s0, v5
	v_mul_hi_u32 v9, s0, v4
	v_mul_lo_u32 v11, s26, v4
	v_add_nc_u32_e32 v6, v9, v6
	v_mul_lo_u32 v9, s0, v4
	v_add_nc_u32_e32 v6, v6, v11
	v_mul_hi_u32 v11, v4, v9
	v_mul_lo_u32 v12, v4, v6
	v_mul_hi_u32 v13, v4, v6
	v_mul_hi_u32 v14, v5, v9
	v_mul_lo_u32 v9, v5, v9
	v_mul_hi_u32 v15, v5, v6
	v_mul_lo_u32 v6, v5, v6
	v_add_co_u32 v11, vcc_lo, v11, v12
	v_add_co_ci_u32_e32 v12, vcc_lo, 0, v13, vcc_lo
	v_add_co_u32 v9, vcc_lo, v11, v9
	v_add_co_ci_u32_e32 v9, vcc_lo, v12, v14, vcc_lo
	v_add_co_ci_u32_e32 v11, vcc_lo, 0, v15, vcc_lo
	v_add_co_u32 v6, vcc_lo, v9, v6
	v_add_co_ci_u32_e32 v9, vcc_lo, 0, v11, vcc_lo
	v_add_co_u32 v4, vcc_lo, v4, v6
	v_add_co_ci_u32_e32 v5, vcc_lo, v5, v9, vcc_lo
	v_mul_hi_u32 v6, s0, v4
	v_mul_lo_u32 v11, s26, v4
	v_mul_lo_u32 v9, s0, v5
	v_add_nc_u32_e32 v6, v6, v9
	v_mul_lo_u32 v9, s0, v4
	v_add_nc_u32_e32 v6, v6, v11
	v_mul_hi_u32 v11, v4, v9
	v_mul_lo_u32 v12, v4, v6
	v_mul_hi_u32 v13, v4, v6
	v_mul_hi_u32 v14, v5, v9
	v_mul_lo_u32 v9, v5, v9
	v_mul_hi_u32 v15, v5, v6
	v_mul_lo_u32 v6, v5, v6
	v_add_co_u32 v11, vcc_lo, v11, v12
	v_add_co_ci_u32_e32 v12, vcc_lo, 0, v13, vcc_lo
	v_add_co_u32 v9, vcc_lo, v11, v9
	v_add_co_ci_u32_e32 v9, vcc_lo, v12, v14, vcc_lo
	v_add_co_ci_u32_e32 v11, vcc_lo, 0, v15, vcc_lo
	v_add_co_u32 v6, vcc_lo, v9, v6
	v_add_co_ci_u32_e32 v9, vcc_lo, 0, v11, vcc_lo
	v_add_co_u32 v6, vcc_lo, v4, v6
	v_add_co_ci_u32_e32 v9, vcc_lo, v5, v9, vcc_lo
	v_mul_hi_u32 v15, v7, v6
	v_mad_u64_u32 v[11:12], null, v8, v6, 0
	v_mad_u64_u32 v[4:5], null, v7, v9, 0
	;; [unrolled: 1-line block ×3, first 2 shown]
	v_add_co_u32 v4, vcc_lo, v15, v4
	v_add_co_ci_u32_e32 v5, vcc_lo, 0, v5, vcc_lo
	v_add_co_u32 v4, vcc_lo, v4, v11
	v_add_co_ci_u32_e32 v4, vcc_lo, v5, v12, vcc_lo
	v_add_co_ci_u32_e32 v5, vcc_lo, 0, v14, vcc_lo
	v_add_co_u32 v9, vcc_lo, v4, v13
	v_add_co_ci_u32_e32 v6, vcc_lo, 0, v5, vcc_lo
	v_mul_lo_u32 v11, s25, v9
	v_mad_u64_u32 v[4:5], null, s24, v9, 0
	v_mul_lo_u32 v12, s24, v6
	v_sub_co_u32 v4, vcc_lo, v7, v4
	v_add3_u32 v5, v5, v12, v11
	v_sub_nc_u32_e32 v11, v8, v5
	v_subrev_co_ci_u32_e64 v11, s0, s25, v11, vcc_lo
	v_add_co_u32 v12, s0, v9, 2
	v_add_co_ci_u32_e64 v13, s0, 0, v6, s0
	v_sub_co_u32 v14, s0, v4, s24
	v_sub_co_ci_u32_e32 v5, vcc_lo, v8, v5, vcc_lo
	v_subrev_co_ci_u32_e64 v11, s0, 0, v11, s0
	v_cmp_le_u32_e32 vcc_lo, s24, v14
	v_cmp_eq_u32_e64 s0, s25, v5
	v_cndmask_b32_e64 v14, 0, -1, vcc_lo
	v_cmp_le_u32_e32 vcc_lo, s25, v11
	v_cndmask_b32_e64 v15, 0, -1, vcc_lo
	v_cmp_le_u32_e32 vcc_lo, s24, v4
	;; [unrolled: 2-line block ×3, first 2 shown]
	v_cndmask_b32_e64 v16, 0, -1, vcc_lo
	v_cmp_eq_u32_e32 vcc_lo, s25, v11
	v_cndmask_b32_e64 v4, v16, v4, s0
	v_cndmask_b32_e32 v11, v15, v14, vcc_lo
	v_add_co_u32 v14, vcc_lo, v9, 1
	v_add_co_ci_u32_e32 v15, vcc_lo, 0, v6, vcc_lo
	v_cmp_ne_u32_e32 vcc_lo, 0, v11
	v_cndmask_b32_e32 v5, v15, v13, vcc_lo
	v_cndmask_b32_e32 v11, v14, v12, vcc_lo
	v_cmp_ne_u32_e32 vcc_lo, 0, v4
	v_cndmask_b32_e32 v6, v6, v5, vcc_lo
	v_cndmask_b32_e32 v5, v9, v11, vcc_lo
.LBB0_4:                                ;   in Loop: Header=BB0_2 Depth=1
	s_andn2_saveexec_b32 s0, s1
	s_cbranch_execz .LBB0_6
; %bb.5:                                ;   in Loop: Header=BB0_2 Depth=1
	v_cvt_f32_u32_e32 v4, s24
	s_sub_i32 s1, 0, s24
	v_rcp_iflag_f32_e32 v4, v4
	v_mul_f32_e32 v4, 0x4f7ffffe, v4
	v_cvt_u32_f32_e32 v4, v4
	v_mul_lo_u32 v5, s1, v4
	v_mul_hi_u32 v5, v4, v5
	v_add_nc_u32_e32 v4, v4, v5
	v_mul_hi_u32 v4, v7, v4
	v_mul_lo_u32 v5, v4, s24
	v_add_nc_u32_e32 v6, 1, v4
	v_sub_nc_u32_e32 v5, v7, v5
	v_subrev_nc_u32_e32 v9, s24, v5
	v_cmp_le_u32_e32 vcc_lo, s24, v5
	v_cndmask_b32_e32 v5, v5, v9, vcc_lo
	v_cndmask_b32_e32 v4, v4, v6, vcc_lo
	v_cmp_le_u32_e32 vcc_lo, s24, v5
	v_add_nc_u32_e32 v6, 1, v4
	v_cndmask_b32_e32 v5, v4, v6, vcc_lo
	v_mov_b32_e32 v6, v3
.LBB0_6:                                ;   in Loop: Header=BB0_2 Depth=1
	s_or_b32 exec_lo, exec_lo, s0
	v_mul_lo_u32 v4, v6, s24
	v_mul_lo_u32 v9, v5, s25
	s_load_dwordx2 s[0:1], s[6:7], 0x0
	v_mad_u64_u32 v[11:12], null, v5, s24, 0
	s_load_dwordx2 s[24:25], s[2:3], 0x0
	s_add_u32 s22, s22, 1
	s_addc_u32 s23, s23, 0
	s_add_u32 s2, s2, 8
	s_addc_u32 s3, s3, 0
	s_add_u32 s6, s6, 8
	v_add3_u32 v4, v12, v9, v4
	v_sub_co_u32 v7, vcc_lo, v7, v11
	s_addc_u32 s7, s7, 0
	s_add_u32 s20, s20, 8
	v_sub_co_ci_u32_e32 v4, vcc_lo, v8, v4, vcc_lo
	s_addc_u32 s21, s21, 0
	s_waitcnt lgkmcnt(0)
	v_mul_lo_u32 v8, s0, v4
	v_mul_lo_u32 v9, s1, v7
	v_mad_u64_u32 v[20:21], null, s0, v7, v[20:21]
	v_mul_lo_u32 v4, s24, v4
	v_mul_lo_u32 v11, s25, v7
	v_mad_u64_u32 v[1:2], null, s24, v7, v[1:2]
	v_cmp_ge_u64_e64 s0, s[22:23], s[14:15]
	v_add3_u32 v21, v9, v21, v8
	v_add3_u32 v2, v11, v2, v4
	s_and_b32 vcc_lo, exec_lo, s0
	s_cbranch_vccnz .LBB0_9
; %bb.7:                                ;   in Loop: Header=BB0_2 Depth=1
	v_mov_b32_e32 v8, v6
	v_mov_b32_e32 v7, v5
	s_branch .LBB0_2
.LBB0_8:
	v_mov_b32_e32 v1, v20
	v_mov_b32_e32 v5, v7
	;; [unrolled: 1-line block ×4, first 2 shown]
.LBB0_9:
	s_load_dwordx2 s[0:1], s[4:5], 0x28
	s_lshl_b64 s[4:5], s[14:15], 3
	v_and_b32_e32 v3, 15, v0
	s_add_u32 s2, s18, s4
	s_addc_u32 s3, s19, s5
                                        ; implicit-def: $vgpr7
                                        ; implicit-def: $vgpr14
                                        ; implicit-def: $vgpr15
                                        ; implicit-def: $vgpr9
                                        ; implicit-def: $vgpr16
                                        ; implicit-def: $vgpr11
                                        ; implicit-def: $vgpr17
                                        ; implicit-def: $vgpr13
                                        ; implicit-def: $vgpr19
	s_waitcnt lgkmcnt(0)
	v_cmp_gt_u64_e32 vcc_lo, s[0:1], v[5:6]
	v_cmp_le_u64_e64 s0, s[0:1], v[5:6]
	s_and_saveexec_b32 s1, s0
	s_xor_b32 s0, exec_lo, s1
; %bb.10:
	v_and_b32_e32 v3, 15, v0
                                        ; implicit-def: $vgpr20_vgpr21
                                        ; implicit-def: $vgpr0
	v_or_b32_e32 v7, 16, v3
	v_or_b32_e32 v14, 0x50, v3
	;; [unrolled: 1-line block ×9, first 2 shown]
; %bb.11:
	s_or_saveexec_b32 s1, s0
                                        ; implicit-def: $vgpr26
                                        ; implicit-def: $vgpr42
                                        ; implicit-def: $vgpr44
                                        ; implicit-def: $vgpr48
                                        ; implicit-def: $vgpr54
                                        ; implicit-def: $vgpr46
                                        ; implicit-def: $vgpr50
                                        ; implicit-def: $vgpr52
                                        ; implicit-def: $vgpr22
                                        ; implicit-def: $vgpr30
                                        ; implicit-def: $vgpr58
                                        ; implicit-def: $vgpr36
                                        ; implicit-def: $vgpr28
                                        ; implicit-def: $vgpr38
                                        ; implicit-def: $vgpr32
                                        ; implicit-def: $vgpr34
                                        ; implicit-def: $vgpr40
                                        ; implicit-def: $vgpr24
                                        ; implicit-def: $vgpr56
                                        ; implicit-def: $vgpr60
	s_xor_b32 exec_lo, exec_lo, s1
	s_cbranch_execz .LBB0_13
; %bb.12:
	s_add_u32 s4, s16, s4
	s_addc_u32 s5, s17, s5
	v_lshlrev_b64 v[11:12], 3, v[20:21]
	s_load_dwordx2 s[4:5], s[4:5], 0x0
	v_lshl_or_b32 v0, v0, 3, 0x980
	v_or_b32_e32 v19, 0x90, v3
	s_waitcnt lgkmcnt(0)
	v_mul_lo_u32 v4, s5, v5
	v_mul_lo_u32 v9, s4, v6
	v_mad_u64_u32 v[7:8], null, s4, v5, 0
	v_add3_u32 v8, v8, v9, v4
	v_lshlrev_b32_e32 v4, 3, v3
	v_lshlrev_b64 v[7:8], 3, v[7:8]
	v_or_b32_e32 v9, 0x800, v4
	v_or_b32_e32 v13, 0x900, v4
	;; [unrolled: 1-line block ×3, first 2 shown]
	v_add_co_u32 v7, s0, s8, v7
	v_add_co_ci_u32_e64 v8, s0, s9, v8, s0
	v_add_co_u32 v17, s0, v7, v11
	v_add_co_ci_u32_e64 v18, s0, v8, v12, s0
	;; [unrolled: 2-line block ×7, first 2 shown]
	s_clause 0x13
	global_load_dwordx2 v[25:26], v[7:8], off
	global_load_dwordx2 v[43:44], v[7:8], off offset:512
	global_load_dwordx2 v[47:48], v[7:8], off offset:1024
	;; [unrolled: 1-line block ×15, first 2 shown]
	global_load_dwordx2 v[49:50], v[11:12], off
	global_load_dwordx2 v[51:52], v[13:14], off
	;; [unrolled: 1-line block ×4, first 2 shown]
	v_or_b32_e32 v9, 32, v3
	v_or_b32_e32 v13, 64, v3
	;; [unrolled: 1-line block ×8, first 2 shown]
.LBB0_13:
	s_or_b32 exec_lo, exec_lo, s1
	s_waitcnt vmcnt(16)
	v_add_f32_e32 v0, v47, v45
	s_waitcnt vmcnt(3)
	v_add_f32_e32 v4, v43, v49
	v_add_f32_e32 v63, v25, v43
	v_sub_f32_e32 v65, v48, v46
	v_sub_f32_e32 v8, v43, v47
	v_fma_f32 v62, -0.5, v0, v25
	v_fmac_f32_e32 v25, -0.5, v4
	v_sub_f32_e32 v0, v47, v43
	v_sub_f32_e32 v4, v45, v49
	;; [unrolled: 1-line block ×4, first 2 shown]
	v_fmamk_f32 v66, v65, 0xbf737871, v25
	v_fmac_f32_e32 v25, 0x3f737871, v65
	v_add_f32_e32 v0, v0, v4
	v_add_f32_e32 v4, v53, v55
	s_waitcnt vmcnt(2)
	v_add_f32_e32 v20, v51, v59
	v_sub_f32_e32 v18, v59, v53
	v_fmac_f32_e32 v66, 0x3f167918, v64
	v_add_f32_e32 v67, v8, v12
	v_fmac_f32_e32 v25, 0xbf167918, v64
	v_sub_f32_e32 v12, v51, v55
	v_fma_f32 v8, -0.5, v4, v41
	v_add_f32_e32 v4, v41, v59
	v_fmac_f32_e32 v41, -0.5, v20
	v_sub_f32_e32 v68, v54, v56
	v_fmac_f32_e32 v66, 0x3e9e377a, v0
	v_fmac_f32_e32 v25, 0x3e9e377a, v0
	v_sub_f32_e32 v20, v53, v59
	v_sub_f32_e32 v61, v55, v51
	v_add_f32_e32 v69, v12, v18
	v_fmamk_f32 v0, v68, 0xbf737871, v41
	v_sub_f32_e32 v70, v60, v52
	v_add_f32_e32 v12, v54, v56
	v_add_f32_e32 v18, v52, v60
	v_fmac_f32_e32 v41, 0x3f737871, v68
	v_add_f32_e32 v20, v61, v20
	v_fmac_f32_e32 v0, 0x3f167918, v70
	v_fma_f32 v12, -0.5, v12, v42
	v_add_f32_e32 v61, v42, v60
	v_fmac_f32_e32 v42, -0.5, v18
	v_sub_f32_e32 v71, v53, v55
	v_fmac_f32_e32 v41, 0xbf167918, v70
	v_sub_f32_e32 v72, v59, v51
	v_sub_f32_e32 v59, v54, v60
	v_sub_f32_e32 v73, v56, v52
	v_fmamk_f32 v18, v71, 0x3f737871, v42
	v_sub_f32_e32 v60, v60, v54
	v_fmac_f32_e32 v42, 0xbf737871, v71
	v_sub_f32_e32 v74, v52, v56
	v_fmac_f32_e32 v0, 0x3e9e377a, v20
	v_fmac_f32_e32 v41, 0x3e9e377a, v20
	v_fmamk_f32 v20, v72, 0xbf737871, v12
	v_add_f32_e32 v59, v73, v59
	v_fmac_f32_e32 v18, 0xbf167918, v72
	v_fmac_f32_e32 v42, 0x3f167918, v72
	v_add_f32_e32 v73, v74, v60
	v_mul_u32_u24_e32 v60, 0x140, v10
	v_fmamk_f32 v10, v70, 0x3f737871, v8
	v_fmac_f32_e32 v20, 0xbf167918, v71
	v_add_f32_e32 v4, v53, v4
	v_fmac_f32_e32 v18, 0x3e9e377a, v59
	v_fmac_f32_e32 v42, 0x3e9e377a, v59
	v_add_f32_e32 v59, v63, v47
	v_fmamk_f32 v74, v64, 0x3f737871, v62
	v_fmac_f32_e32 v10, 0x3f167918, v68
	v_fmac_f32_e32 v20, 0x3e9e377a, v73
	v_add_f32_e32 v4, v55, v4
	v_fmac_f32_e32 v8, 0xbf737871, v70
	v_add_f32_e32 v53, v59, v45
	v_fmac_f32_e32 v74, 0x3f167918, v65
	v_fmac_f32_e32 v10, 0x3e9e377a, v69
	v_mul_f32_e32 v55, 0x3f167918, v20
	v_mul_f32_e32 v75, 0x3e9e377a, v0
	;; [unrolled: 1-line block ×3, first 2 shown]
	v_add_f32_e32 v51, v51, v4
	v_lshlrev_b32_e32 v4, 2, v60
	v_fmac_f32_e32 v12, 0x3f737871, v72
	v_fmac_f32_e32 v8, 0xbf167918, v68
	v_add_f32_e32 v53, v53, v49
	v_fmac_f32_e32 v74, 0x3e9e377a, v67
	v_fmac_f32_e32 v55, 0x3f4f1bbd, v10
	;; [unrolled: 1-line block ×3, first 2 shown]
	v_fma_f32 v76, 0x3f737871, v42, -v59
	v_mul_u32_u24_e32 v68, 10, v3
	v_add_nc_u32_e32 v70, 0, v4
	v_fmac_f32_e32 v62, 0xbf737871, v64
	v_fmac_f32_e32 v12, 0x3f167918, v71
	;; [unrolled: 1-line block ×3, first 2 shown]
	v_add_f32_e32 v59, v53, v51
	v_add_f32_e32 v60, v74, v55
	;; [unrolled: 1-line block ×4, first 2 shown]
	v_lshl_add_u32 v69, v68, 2, v70
	v_fmac_f32_e32 v62, 0xbf167918, v65
	v_fmac_f32_e32 v12, 0x3e9e377a, v73
	v_mul_f32_e32 v65, 0x3f4f1bbd, v8
	s_waitcnt vmcnt(0)
	v_sub_f32_e32 v72, v37, v33
	ds_write2_b64 v69, v[59:60], v[63:64] offset1:1
	v_sub_f32_e32 v59, v74, v55
	v_fmac_f32_e32 v62, 0x3e9e377a, v67
	v_fma_f32 v55, 0x3f167918, v12, -v65
	v_add_f32_e32 v65, v35, v27
	v_sub_f32_e32 v60, v66, v75
	v_add_f32_e32 v66, v29, v31
	v_sub_f32_e32 v64, v53, v51
	v_add_f32_e32 v63, v62, v55
	v_fma_f32 v51, -0.5, v65, v21
	v_add_f32_e32 v53, v21, v29
	v_fmac_f32_e32 v21, -0.5, v66
	v_sub_f32_e32 v65, v36, v28
	ds_write2_b64 v69, v[63:64], v[59:60] offset0:2 offset1:3
	v_sub_f32_e32 v60, v62, v55
	v_sub_f32_e32 v55, v35, v29
	;; [unrolled: 1-line block ×3, first 2 shown]
	v_fmamk_f32 v66, v65, 0xbf737871, v21
	v_sub_f32_e32 v62, v30, v32
	v_fmac_f32_e32 v21, 0x3f737871, v65
	v_sub_f32_e32 v63, v29, v35
	v_sub_f32_e32 v64, v31, v27
	v_add_f32_e32 v55, v55, v59
	v_fmac_f32_e32 v66, 0x3f167918, v62
	v_fmac_f32_e32 v21, 0xbf167918, v62
	v_sub_f32_e32 v59, v25, v76
	v_add_f32_e32 v25, v63, v64
	v_add_f32_e32 v63, v37, v39
	v_fmac_f32_e32 v66, 0x3e9e377a, v55
	v_add_f32_e32 v64, v57, v33
	v_fmac_f32_e32 v21, 0x3e9e377a, v55
	v_sub_f32_e32 v55, v39, v57
	v_sub_f32_e32 v67, v57, v39
	;; [unrolled: 1-line block ×3, first 2 shown]
	v_fma_f32 v71, -0.5, v63, v23
	v_add_f32_e32 v63, v57, v23
	v_fmac_f32_e32 v23, -0.5, v64
	v_sub_f32_e32 v64, v40, v38
	v_add_f32_e32 v74, v38, v40
	v_add_f32_e32 v55, v72, v55
	;; [unrolled: 1-line block ×4, first 2 shown]
	v_fmamk_f32 v73, v64, 0xbf737871, v23
	v_sub_f32_e32 v68, v58, v34
	v_fmac_f32_e32 v23, 0x3f737871, v64
	v_fma_f32 v74, -0.5, v74, v24
	v_add_f32_e32 v75, v58, v24
	v_fmac_f32_e32 v24, -0.5, v72
	v_sub_f32_e32 v72, v39, v37
	v_sub_f32_e32 v76, v40, v58
	;; [unrolled: 1-line block ×3, first 2 shown]
	v_fmac_f32_e32 v73, 0x3f167918, v68
	v_fmac_f32_e32 v23, 0xbf167918, v68
	v_sub_f32_e32 v57, v57, v33
	v_fmamk_f32 v78, v72, 0x3f737871, v24
	v_sub_f32_e32 v58, v58, v40
	v_fmac_f32_e32 v24, 0xbf737871, v72
	v_sub_f32_e32 v79, v34, v38
	v_add_f32_e32 v76, v77, v76
	v_fmamk_f32 v77, v68, 0x3f737871, v71
	v_fmac_f32_e32 v71, 0xbf737871, v68
	v_fmac_f32_e32 v78, 0xbf167918, v57
	v_fmac_f32_e32 v73, 0x3e9e377a, v55
	v_fmac_f32_e32 v24, 0x3f167918, v57
	v_fmac_f32_e32 v23, 0x3e9e377a, v55
	v_add_f32_e32 v55, v79, v58
	v_add_f32_e32 v53, v53, v35
	v_fmamk_f32 v79, v57, 0xbf737871, v74
	v_fmac_f32_e32 v77, 0x3f167918, v64
	v_add_f32_e32 v39, v39, v63
	v_fmac_f32_e32 v74, 0x3f737871, v57
	v_fmac_f32_e32 v71, 0xbf167918, v64
	;; [unrolled: 1-line block ×4, first 2 shown]
	v_fmamk_f32 v76, v62, 0x3f737871, v51
	v_add_f32_e32 v53, v53, v27
	v_fmac_f32_e32 v79, 0xbf167918, v72
	v_fmac_f32_e32 v77, 0x3e9e377a, v67
	v_add_f32_e32 v37, v37, v39
	v_fmac_f32_e32 v51, 0xbf737871, v62
	v_fmac_f32_e32 v74, 0x3f167918, v72
	;; [unrolled: 1-line block ×4, first 2 shown]
	v_add_f32_e32 v39, v53, v31
	v_fmac_f32_e32 v79, 0x3e9e377a, v55
	v_mul_f32_e32 v53, 0x3f4f1bbd, v77
	v_add_f32_e32 v33, v33, v37
	v_mul_f32_e32 v37, 0x3e9e377a, v73
	v_mul_f32_e32 v58, 0x3e9e377a, v23
	v_fmac_f32_e32 v51, 0xbf167918, v65
	v_fmac_f32_e32 v74, 0x3e9e377a, v55
	v_mul_f32_e32 v55, 0x3f4f1bbd, v71
	v_fmac_f32_e32 v76, 0x3e9e377a, v25
	v_fmac_f32_e32 v53, 0x3f167918, v79
	;; [unrolled: 1-line block ×3, first 2 shown]
	v_fma_f32 v68, 0x3f737871, v24, -v58
	v_mul_i32_i24_e32 v64, 10, v7
	v_fmac_f32_e32 v51, 0x3e9e377a, v25
	v_fma_f32 v25, 0x3f167918, v74, -v55
	v_add_f32_e32 v57, v39, v33
	v_add_f32_e32 v58, v76, v53
	;; [unrolled: 1-line block ×4, first 2 shown]
	v_lshl_add_u32 v72, v64, 2, v70
	v_sub_f32_e32 v64, v76, v53
	v_sub_f32_e32 v65, v66, v37
	v_sub_f32_e32 v67, v39, v33
	v_add_f32_e32 v66, v51, v25
	v_add_f32_e32 v37, v26, v44
	ds_write_b64 v69, v[59:60] offset:32
	ds_write2_b64 v72, v[57:58], v[62:63] offset1:1
	ds_write2_b64 v72, v[66:67], v[64:65] offset0:2 offset1:3
	v_add_f32_e32 v39, v48, v46
	v_sub_f32_e32 v59, v47, v45
	v_sub_f32_e32 v45, v44, v48
	;; [unrolled: 1-line block ×3, first 2 shown]
	v_add_f32_e32 v44, v44, v50
	v_add_f32_e32 v37, v37, v48
	v_sub_f32_e32 v60, v43, v49
	v_fma_f32 v62, -0.5, v39, v26
	v_add_f32_e32 v33, v54, v61
	v_fmac_f32_e32 v26, -0.5, v44
	v_add_f32_e32 v37, v37, v46
	v_sub_f32_e32 v48, v50, v46
	v_sub_f32_e32 v46, v46, v50
	v_fmamk_f32 v81, v60, 0xbf737871, v62
	v_fmamk_f32 v76, v59, 0x3f737871, v26
	v_fmac_f32_e32 v26, 0xbf737871, v59
	v_add_f32_e32 v33, v56, v33
	v_mul_f32_e32 v49, 0x3e9e377a, v42
	v_sub_f32_e32 v42, v21, v68
	v_add_f32_e32 v80, v45, v48
	v_add_f32_e32 v21, v47, v46
	v_fmac_f32_e32 v76, 0xbf167918, v60
	v_mul_f32_e32 v82, 0xbf167918, v10
	v_fmac_f32_e32 v81, 0xbf167918, v59
	v_mul_f32_e32 v83, 0xbf737871, v0
	v_fmac_f32_e32 v26, 0x3f167918, v60
	v_add_f32_e32 v61, v37, v50
	v_add_f32_e32 v63, v52, v33
	v_fma_f32 v64, 0xbf737871, v41, -v49
	v_fmac_f32_e32 v76, 0x3e9e377a, v21
	v_fmac_f32_e32 v82, 0x3f4f1bbd, v20
	;; [unrolled: 1-line block ×5, first 2 shown]
	v_lshlrev_b32_e32 v10, 2, v3
	v_fmac_f32_e32 v62, 0x3f737871, v60
	v_sub_f32_e32 v43, v51, v25
	v_add_f32_e32 v20, v61, v63
	v_add_f32_e32 v21, v81, v82
	;; [unrolled: 1-line block ×4, first 2 shown]
	v_add_nc_u32_e32 v0, v70, v10
	v_add3_u32 v47, 0, v10, v4
	v_fmac_f32_e32 v62, 0x3f167918, v59
	v_mul_f32_e32 v12, 0x3f4f1bbd, v12
	v_lshl_add_u32 v37, v14, 2, v70
	v_mad_i32_i24 v52, 0xffffffdc, v7, v72
	v_lshl_add_u32 v39, v15, 2, v70
	v_lshl_add_u32 v48, v9, 2, v70
	ds_write_b64 v72, v[42:43] offset:32
	s_load_dwordx2 s[2:3], s[2:3], 0x0
	s_waitcnt lgkmcnt(0)
	s_barrier
	buffer_gl0_inv
	v_lshl_add_u32 v49, v16, 2, v70
	v_lshl_add_u32 v50, v11, 2, v70
	;; [unrolled: 1-line block ×5, first 2 shown]
	v_add_nc_u32_e32 v55, 0x400, v47
	ds_read_b32 v56, v0
	ds_read_b32 v70, v37
	;; [unrolled: 1-line block ×10, first 2 shown]
	ds_read2_b32 v[65:66], v47 offset0:160 offset1:176
	ds_read2_b32 v[45:46], v47 offset0:224 offset1:240
	ds_read2_b32 v[43:44], v55 offset1:16
	ds_read2_b32 v[67:68], v47 offset0:192 offset1:208
	ds_read2_b32 v[41:42], v55 offset0:32 offset1:48
	s_waitcnt lgkmcnt(0)
	s_barrier
	buffer_gl0_inv
	ds_write2_b64 v69, v[20:21], v[57:58] offset1:1
	v_fmac_f32_e32 v62, 0x3e9e377a, v80
	v_fma_f32 v8, 0xbf167918, v8, -v12
	v_add_f32_e32 v12, v40, v75
	v_add_f32_e32 v20, v22, v30
	v_sub_f32_e32 v60, v61, v63
	v_sub_f32_e32 v61, v26, v64
	v_add_f32_e32 v59, v62, v8
	v_sub_f32_e32 v62, v62, v8
	v_add_f32_e32 v8, v38, v12
	v_add_f32_e32 v12, v20, v36
	;; [unrolled: 1-line block ×3, first 2 shown]
	v_sub_f32_e32 v21, v35, v27
	v_sub_f32_e32 v26, v30, v36
	;; [unrolled: 1-line block ×3, first 2 shown]
	v_add_f32_e32 v30, v30, v32
	v_fma_f32 v36, -0.5, v20, v22
	v_sub_f32_e32 v29, v29, v31
	v_sub_f32_e32 v20, v28, v32
	v_add_f32_e32 v12, v12, v28
	v_fmac_f32_e32 v22, -0.5, v30
	v_sub_f32_e32 v31, v32, v28
	v_fmamk_f32 v28, v29, 0xbf737871, v36
	v_add_f32_e32 v20, v27, v20
	v_fmac_f32_e32 v36, 0x3f737871, v29
	v_fmamk_f32 v30, v21, 0x3f737871, v22
	v_fmac_f32_e32 v22, 0xbf737871, v21
	v_cmp_gt_u32_e64 s0, 10, v3
	v_add_f32_e32 v8, v34, v8
	v_add_f32_e32 v31, v26, v31
	v_fmac_f32_e32 v30, 0xbf167918, v29
	v_fmac_f32_e32 v22, 0x3f167918, v29
	v_mul_f32_e32 v34, 0xbf167918, v77
	v_fmac_f32_e32 v28, 0xbf167918, v21
	v_mul_f32_e32 v35, 0xbf737871, v73
	v_fmac_f32_e32 v30, 0x3e9e377a, v20
	v_fmac_f32_e32 v22, 0x3e9e377a, v20
	v_add_nc_u32_e32 v20, -10, v3
	v_fmac_f32_e32 v36, 0x3f167918, v21
	v_mul_f32_e32 v21, 0x3f4f1bbd, v74
	v_mul_f32_e32 v24, 0x3e9e377a, v24
	v_fmac_f32_e32 v34, 0x3f4f1bbd, v79
	v_cndmask_b32_e64 v38, v20, v3, s0
	v_fmac_f32_e32 v28, 0x3e9e377a, v31
	v_fmac_f32_e32 v35, 0x3e9e377a, v78
	v_fma_f32 v40, 0xbf167918, v71, -v21
	v_mov_b32_e32 v21, 0
	v_mul_i32_i24_e32 v20, 3, v38
	v_add_f32_e32 v12, v12, v32
	v_fma_f32 v32, 0xbf737871, v23, -v24
	v_fmac_f32_e32 v36, 0x3e9e377a, v31
	v_add_f32_e32 v24, v28, v34
	v_add_f32_e32 v26, v30, v35
	v_sub_f32_e32 v28, v28, v34
	v_sub_f32_e32 v29, v30, v35
	v_lshlrev_b64 v[34:35], 3, v[20:21]
	v_sub_f32_e32 v57, v81, v82
	v_sub_f32_e32 v58, v76, v83
	v_add_f32_e32 v23, v12, v8
	v_add_f32_e32 v27, v22, v32
	v_sub_f32_e32 v31, v12, v8
	v_add_f32_e32 v30, v36, v40
	ds_write2_b64 v69, v[59:60], v[57:58] offset0:2 offset1:3
	ds_write_b64 v69, v[61:62] offset:32
	ds_write2_b64 v72, v[23:24], v[26:27] offset1:1
	ds_write2_b64 v72, v[30:31], v[28:29] offset0:2 offset1:3
	v_add_co_u32 v30, s0, s12, v34
	v_sub_f32_e32 v22, v22, v32
	v_sub_f32_e32 v23, v36, v40
	v_add_co_ci_u32_e64 v31, s0, s13, v35, s0
	v_and_b32_e32 v8, 0xff, v7
	v_mov_b32_e32 v20, 3
	ds_write_b64 v72, v[22:23] offset:32
	s_waitcnt lgkmcnt(0)
	s_barrier
	buffer_gl0_inv
	global_load_dwordx4 v[26:29], v[30:31], off
	v_mul_lo_u16 v8, 0xcd, v8
	v_and_b32_e32 v23, 0xff, v11
	ds_read_b32 v34, v37
	v_cmp_lt_u32_e64 s0, 9, v3
	v_lshlrev_b32_e32 v38, 2, v38
	v_lshrrev_b16 v8, 11, v8
	v_mul_lo_u16 v12, v8, 10
	v_and_b32_e32 v8, 0xffff, v8
	v_sub_nc_u16 v12, v7, v12
	v_mad_u32_u24 v8, 0xa0, v8, 0
	v_mul_u32_u24_sdwa v22, v12, v20 dst_sel:DWORD dst_unused:UNUSED_PAD src0_sel:BYTE_0 src1_sel:DWORD
	v_lshlrev_b32_e32 v24, 3, v22
	v_and_b32_e32 v22, 0xff, v9
	global_load_dwordx4 v[57:60], v24, s[12:13]
	v_mul_lo_u16 v22, 0xcd, v22
	v_lshrrev_b16 v32, 11, v22
	v_mul_lo_u16 v22, v32, 10
	v_sub_nc_u16 v36, v9, v22
	v_mul_lo_u16 v22, 0xcd, v23
	v_mul_u32_u24_sdwa v23, v36, v20 dst_sel:DWORD dst_unused:UNUSED_PAD src0_sel:BYTE_0 src1_sel:DWORD
	v_lshrrev_b16 v40, 11, v22
	v_lshlrev_b32_e32 v69, 3, v23
	ds_read2_b32 v[22:23], v47 offset0:160 offset1:176
	v_mul_lo_u16 v35, v40, 10
	s_clause 0x1
	global_load_dwordx4 v[61:64], v69, s[12:13]
	global_load_dwordx2 v[30:31], v[30:31], off offset:16
	v_sub_nc_u16 v71, v11, v35
	ds_read_b32 v72, v50
	ds_read_b32 v73, v48
	;; [unrolled: 1-line block ×4, first 2 shown]
	v_mul_u32_u24_sdwa v35, v71, v20 dst_sel:DWORD dst_unused:UNUSED_PAD src0_sel:BYTE_0 src1_sel:DWORD
	v_lshlrev_b32_e32 v79, 3, v35
	s_waitcnt vmcnt(3) lgkmcnt(5)
	v_mul_f32_e32 v76, v34, v27
	v_mul_f32_e32 v77, v70, v27
	s_waitcnt lgkmcnt(4)
	v_mul_f32_e32 v27, v22, v29
	v_mul_f32_e32 v78, v65, v29
	v_fma_f32 v70, v70, v26, -v76
	v_fmac_f32_e32 v77, v34, v26
	v_fma_f32 v65, v65, v28, -v27
	v_fmac_f32_e32 v78, v22, v28
	global_load_dwordx4 v[26:29], v79, s[12:13]
	ds_read_b32 v22, v39
	global_load_dwordx2 v[34:35], v24, s[12:13] offset:16
	s_waitcnt vmcnt(4)
	v_mul_f32_e32 v24, v23, v60
	v_mul_f32_e32 v76, v84, v58
	v_fma_f32 v24, v66, v59, -v24
	v_mul_f32_e32 v66, v66, v60
	ds_read_b32 v60, v49
	s_waitcnt lgkmcnt(1)
	v_fmac_f32_e32 v76, v22, v57
	v_sub_f32_e32 v24, v33, v24
	v_fmac_f32_e32 v66, v23, v59
	v_mul_f32_e32 v23, v22, v58
	v_fma_f32 v33, v33, 2.0, -v24
	v_fma_f32 v80, v84, v57, -v23
	ds_read2_b32 v[22:23], v47 offset0:192 offset1:208
	global_load_dwordx2 v[57:58], v69, s[12:13] offset:16
	s_waitcnt vmcnt(4) lgkmcnt(1)
	v_mul_f32_e32 v59, v60, v62
	v_mul_f32_e32 v69, v85, v62
	;; [unrolled: 1-line block ×3, first 2 shown]
	v_fma_f32 v62, v85, v61, -v59
	v_and_b32_e32 v59, 0xff, v13
	v_fmac_f32_e32 v69, v60, v61
	s_waitcnt lgkmcnt(0)
	v_mul_f32_e32 v60, v22, v64
	v_fmac_f32_e32 v81, v22, v63
	ds_read_b32 v22, v51
	v_mul_lo_u16 v59, 0xcd, v59
	v_fma_f32 v61, v67, v63, -v60
	v_lshrrev_b16 v63, 11, v59
	global_load_dwordx2 v[59:60], v79, s[12:13] offset:16
	v_mul_lo_u16 v64, v63, 10
	v_sub_nc_u16 v64, v13, v64
	v_mul_u32_u24_sdwa v20, v64, v20 dst_sel:DWORD dst_unused:UNUSED_PAD src0_sel:BYTE_0 src1_sel:DWORD
	v_lshlrev_b32_e32 v20, 3, v20
	s_waitcnt vmcnt(3)
	v_mul_f32_e32 v67, v23, v29
	v_mul_f32_e32 v79, v86, v27
	v_fma_f32 v67, v68, v28, -v67
	v_mul_f32_e32 v68, v68, v29
	s_waitcnt lgkmcnt(0)
	v_fmac_f32_e32 v79, v22, v26
	v_fmac_f32_e32 v68, v23, v28
	v_mul_f32_e32 v23, v22, v27
	v_fma_f32 v82, v86, v26, -v23
	s_clause 0x1
	global_load_dwordx4 v[26:29], v20, s[12:13]
	global_load_dwordx2 v[22:23], v20, s[12:13] offset:16
	ds_read_b32 v20, v54
	ds_read_b32 v83, v53
	s_waitcnt vmcnt(1) lgkmcnt(1)
	v_mul_f32_e32 v84, v20, v27
	v_mul_f32_e32 v85, v87, v27
	;; [unrolled: 1-line block ×3, first 2 shown]
	v_fma_f32 v84, v87, v26, -v84
	v_fmac_f32_e32 v85, v20, v26
	ds_read2_b32 v[26:27], v47 offset0:224 offset1:240
	s_waitcnt lgkmcnt(0)
	v_mul_f32_e32 v20, v26, v29
	v_fmac_f32_e32 v86, v26, v28
	v_mul_f32_e32 v26, v27, v31
	v_mul_f32_e32 v31, v46, v31
	v_fma_f32 v20, v45, v28, -v20
	v_fma_f32 v45, v46, v30, -v26
	v_fmac_f32_e32 v31, v27, v30
	ds_read2_b32 v[26:27], v55 offset1:16
	v_mul_f32_e32 v30, v43, v35
	v_sub_f32_e32 v20, v10, v20
	v_sub_f32_e32 v31, v77, v31
	v_fma_f32 v10, v10, 2.0, -v20
	s_waitcnt lgkmcnt(0)
	v_mul_f32_e32 v28, v26, v35
	v_fmac_f32_e32 v30, v26, v34
	v_mul_f32_e32 v26, v27, v58
	v_fma_f32 v35, v43, v34, -v28
	ds_read2_b32 v[28:29], v55 offset0:32 offset1:48
	v_mul_f32_e32 v34, v44, v58
	v_mul_f32_e32 v43, v41, v60
	v_fma_f32 v26, v44, v57, -v26
	s_waitcnt vmcnt(0) lgkmcnt(0)
	s_barrier
	v_fmac_f32_e32 v34, v27, v57
	buffer_gl0_inv
	v_sub_f32_e32 v30, v76, v30
	v_sub_f32_e32 v26, v62, v26
	v_mul_f32_e32 v27, v28, v60
	v_fmac_f32_e32 v43, v28, v59
	v_sub_f32_e32 v28, v56, v65
	v_mul_f32_e32 v44, v29, v23
	v_mul_f32_e32 v23, v42, v23
	v_fma_f32 v27, v41, v59, -v27
	v_sub_f32_e32 v41, v70, v45
	v_cndmask_b32_e64 v45, 0, 0xa0, s0
	v_fma_f32 v46, v56, 2.0, -v28
	v_sub_f32_e32 v57, v28, v31
	v_fma_f32 v42, v42, v22, -v44
	v_fma_f32 v56, v70, 2.0, -v41
	v_add_nc_u32_e32 v45, 0, v45
	v_fmac_f32_e32 v23, v29, v22
	v_fma_f32 v28, v28, 2.0, -v57
	v_sub_f32_e32 v27, v82, v27
	v_sub_f32_e32 v56, v46, v56
	v_add3_u32 v22, v45, v38, v4
	v_sub_f32_e32 v38, v80, v35
	v_mov_b32_e32 v35, 2
	v_sub_f32_e32 v23, v85, v23
	v_fma_f32 v29, v46, 2.0, -v56
	v_sub_f32_e32 v46, v69, v34
	v_fma_f32 v44, v80, 2.0, -v38
	v_lshlrev_b32_sdwa v12, v35, v12 dst_sel:DWORD dst_unused:UNUSED_PAD src0_sel:DWORD src1_sel:BYTE_0
	v_lshlrev_b32_sdwa v36, v35, v36 dst_sel:DWORD dst_unused:UNUSED_PAD src0_sel:DWORD src1_sel:BYTE_0
	ds_write2_b32 v22, v29, v28 offset1:10
	v_and_b32_e32 v29, 0xffff, v32
	v_sub_f32_e32 v28, v33, v44
	v_add3_u32 v8, v8, v12, v4
	v_sub_f32_e32 v12, v24, v30
	v_fma_f32 v44, v62, 2.0, -v26
	v_mad_u32_u24 v29, 0xa0, v29, 0
	v_fma_f32 v32, v33, 2.0, -v28
	v_sub_f32_e32 v33, v25, v61
	v_fma_f32 v24, v24, 2.0, -v12
	ds_write2_b32 v22, v56, v57 offset0:20 offset1:30
	ds_write2_b32 v8, v32, v24 offset1:10
	ds_write2_b32 v8, v28, v12 offset0:20 offset1:30
	v_fma_f32 v25, v25, 2.0, -v33
	v_add3_u32 v12, v29, v36, v4
	v_sub_f32_e32 v28, v33, v46
	v_and_b32_e32 v29, 0xffff, v40
	v_sub_f32_e32 v32, v18, v67
	v_sub_f32_e32 v24, v25, v44
	v_lshlrev_b32_sdwa v40, v35, v71 dst_sel:DWORD dst_unused:UNUSED_PAD src0_sel:DWORD src1_sel:BYTE_0
	v_fma_f32 v33, v33, 2.0, -v28
	v_mad_u32_u24 v29, 0xa0, v29, 0
	v_fma_f32 v18, v18, 2.0, -v32
	v_fma_f32 v25, v25, 2.0, -v24
	;; [unrolled: 1-line block ×3, first 2 shown]
	ds_write2_b32 v12, v25, v33 offset1:10
	ds_write2_b32 v12, v24, v28 offset0:20 offset1:30
	v_add3_u32 v28, v29, v40, v4
	v_sub_f32_e32 v29, v84, v42
	v_sub_f32_e32 v36, v79, v43
	;; [unrolled: 1-line block ×3, first 2 shown]
	v_and_b32_e32 v33, 0xffff, v63
	v_lshlrev_b32_sdwa v35, v35, v64 dst_sel:DWORD dst_unused:UNUSED_PAD src0_sel:DWORD src1_sel:BYTE_0
	v_fma_f32 v34, v84, 2.0, -v29
	v_sub_f32_e32 v25, v32, v36
	v_sub_f32_e32 v42, v20, v23
	v_mad_u32_u24 v33, 0xa0, v33, 0
	v_fma_f32 v18, v18, 2.0, -v24
	v_sub_f32_e32 v34, v10, v34
	v_fma_f32 v32, v32, 2.0, -v25
	v_fma_f32 v20, v20, 2.0, -v42
	v_add3_u32 v33, v33, v35, v4
	v_sub_f32_e32 v40, v75, v78
	v_fma_f32 v10, v10, 2.0, -v34
	ds_write2_b32 v28, v18, v32 offset1:10
	ds_write2_b32 v28, v24, v25 offset0:20 offset1:30
	ds_write2_b32 v33, v10, v20 offset1:10
	ds_write2_b32 v33, v34, v42 offset0:20 offset1:30
	v_sub_f32_e32 v24, v74, v66
	v_fma_f32 v31, v77, 2.0, -v31
	v_fma_f32 v43, v75, 2.0, -v40
	;; [unrolled: 1-line block ×3, first 2 shown]
	s_waitcnt lgkmcnt(0)
	v_fma_f32 v30, v74, 2.0, -v24
	v_add_f32_e32 v32, v24, v38
	v_sub_f32_e32 v18, v43, v31
	v_add_f32_e32 v31, v40, v41
	v_sub_f32_e32 v38, v73, v81
	v_sub_f32_e32 v25, v30, v25
	v_fma_f32 v24, v24, 2.0, -v32
	v_fma_f32 v10, v43, 2.0, -v18
	;; [unrolled: 1-line block ×3, first 2 shown]
	s_barrier
	v_fma_f32 v30, v30, 2.0, -v25
	buffer_gl0_inv
	ds_read_b32 v75, v0
	ds_read_b32 v77, v37
	;; [unrolled: 1-line block ×10, first 2 shown]
	ds_read2_b32 v[34:35], v47 offset0:160 offset1:176
	ds_read2_b32 v[44:45], v47 offset0:224 offset1:240
	ds_read2_b32 v[60:61], v55 offset1:16
	ds_read2_b32 v[62:63], v47 offset0:192 offset1:208
	ds_read2_b32 v[64:65], v55 offset0:32 offset1:48
	s_waitcnt lgkmcnt(0)
	s_barrier
	buffer_gl0_inv
	ds_write2_b32 v22, v10, v20 offset1:10
	v_fma_f32 v10, v69, 2.0, -v46
	v_fma_f32 v20, v73, 2.0, -v38
	ds_write2_b32 v22, v18, v31 offset0:20 offset1:30
	ds_write2_b32 v8, v30, v24 offset1:10
	ds_write2_b32 v8, v25, v32 offset0:20 offset1:30
	v_sub_f32_e32 v8, v72, v68
	v_sub_f32_e32 v18, v83, v86
	v_add_f32_e32 v22, v38, v26
	v_sub_f32_e32 v10, v20, v10
	v_fma_f32 v24, v79, 2.0, -v36
	v_fma_f32 v25, v72, 2.0, -v8
	v_fma_f32 v23, v85, 2.0, -v23
	v_fma_f32 v26, v83, 2.0, -v18
	v_fma_f32 v20, v20, 2.0, -v10
	v_fma_f32 v30, v38, 2.0, -v22
	v_sub_f32_e32 v24, v25, v24
	v_add_f32_e32 v27, v8, v27
	v_sub_f32_e32 v23, v26, v23
	v_add_f32_e32 v29, v18, v29
	ds_write2_b32 v12, v20, v30 offset1:10
	v_fma_f32 v20, v25, 2.0, -v24
	v_fma_f32 v8, v8, 2.0, -v27
	v_fma_f32 v25, v26, 2.0, -v23
	v_mul_u32_u24_e32 v26, 3, v3
	v_fma_f32 v18, v18, 2.0, -v29
	ds_write2_b32 v12, v10, v22 offset0:20 offset1:30
	ds_write2_b32 v28, v20, v8 offset1:10
	ds_write2_b32 v28, v24, v27 offset0:20 offset1:30
	ds_write2_b32 v33, v25, v18 offset1:10
	ds_write2_b32 v33, v23, v29 offset0:20 offset1:30
	v_lshlrev_b32_e32 v8, 3, v26
	s_waitcnt lgkmcnt(0)
	s_barrier
	buffer_gl0_inv
	v_mul_i32_i24_e32 v20, 3, v7
	global_load_dwordx4 v[22:25], v8, s[12:13] offset:240
	v_add_nc_u32_e32 v10, -8, v3
	v_lshlrev_b64 v[26:27], 3, v[20:21]
	v_add_co_u32 v66, s0, s12, v26
	v_add_co_ci_u32_e64 v67, s0, s13, v27, s0
	v_cmp_gt_u32_e64 s0, 40, v9
	global_load_dwordx4 v[26:29], v[66:67], off offset:240
	v_cndmask_b32_e64 v10, v10, v9, s0
	v_mul_i32_i24_e32 v20, 3, v10
	v_lshlrev_b32_e32 v10, 2, v10
	v_lshlrev_b64 v[30:31], 3, v[20:21]
	v_add_co_u32 v68, s0, s12, v30
	v_add_co_ci_u32_e64 v69, s0, s13, v31, s0
	s_clause 0x1
	global_load_dwordx4 v[30:33], v[68:69], off offset:240
	global_load_dwordx4 v[40:43], v8, s[12:13] offset:432
	ds_read_b32 v12, v37
	ds_read2_b32 v[70:71], v47 offset0:160 offset1:176
	s_clause 0x1
	global_load_dwordx4 v[56:59], v8, s[12:13] offset:816
	global_load_dwordx2 v[72:73], v8, s[12:13] offset:256
	ds_read_b32 v18, v50
	ds_read_b32 v20, v48
	;; [unrolled: 1-line block ×4, first 2 shown]
	global_load_dwordx2 v[66:67], v[66:67], off offset:256
	v_cmp_lt_u32_e64 s0, 39, v9
	s_waitcnt vmcnt(6) lgkmcnt(5)
	v_mul_f32_e32 v38, v12, v23
	v_mul_f32_e32 v46, v77, v23
	s_waitcnt lgkmcnt(4)
	v_mul_f32_e32 v76, v70, v25
	v_fma_f32 v38, v77, v22, -v38
	v_fmac_f32_e32 v46, v12, v22
	global_load_dwordx2 v[22:23], v[68:69], off offset:256
	v_mul_f32_e32 v12, v34, v25
	v_fma_f32 v34, v34, v24, -v76
	v_fmac_f32_e32 v12, v70, v24
	s_clause 0x1
	global_load_dwordx2 v[24:25], v8, s[12:13] offset:448
	global_load_dwordx2 v[68:69], v8, s[12:13] offset:832
	ds_read_b32 v70, v49
	ds_read_b32 v81, v53
	s_waitcnt vmcnt(8)
	v_mul_f32_e32 v8, v71, v29
	v_mul_f32_e32 v76, v80, v27
	s_waitcnt lgkmcnt(2)
	v_sub_f32_e32 v12, v36, v12
	v_fma_f32 v8, v35, v28, -v8
	v_mul_f32_e32 v35, v35, v29
	ds_read_b32 v29, v39
	v_sub_f32_e32 v8, v78, v8
	v_fmac_f32_e32 v35, v71, v28
	v_sub_f32_e32 v35, v74, v35
	s_waitcnt vmcnt(7)
	v_mul_f32_e32 v77, v84, v31
	s_waitcnt lgkmcnt(0)
	v_mul_f32_e32 v28, v29, v27
	v_fmac_f32_e32 v76, v29, v26
	v_fmac_f32_e32 v77, v70, v30
	v_fma_f32 v71, v80, v26, -v28
	ds_read2_b32 v[26:27], v47 offset0:192 offset1:208
	v_mul_f32_e32 v28, v70, v31
	ds_read_b32 v31, v51
	s_waitcnt vmcnt(6)
	v_mul_f32_e32 v80, v88, v41
	v_fma_f32 v79, v84, v30, -v28
	s_waitcnt lgkmcnt(1)
	v_mul_f32_e32 v28, v26, v33
	v_mul_f32_e32 v33, v62, v33
	v_fma_f32 v62, v62, v32, -v28
	v_fmac_f32_e32 v33, v26, v32
	ds_read_b32 v32, v54
	v_mul_f32_e32 v26, v27, v43
	ds_read2_b32 v[28:29], v47 offset0:224 offset1:240
	s_waitcnt lgkmcnt(2)
	v_fmac_f32_e32 v80, v31, v40
	v_fma_f32 v70, v63, v42, -v26
	v_mul_f32_e32 v63, v63, v43
	v_mul_f32_e32 v26, v31, v41
	ds_read2_b32 v[30:31], v55 offset0:32 offset1:48
	s_waitcnt vmcnt(4)
	v_mul_f32_e32 v43, v45, v73
	v_fmac_f32_e32 v63, v27, v42
	v_fma_f32 v41, v88, v40, -v26
	ds_read2_b32 v[26:27], v55 offset1:16
	s_waitcnt vmcnt(0) lgkmcnt(0)
	s_barrier
	buffer_gl0_inv
	v_mul_f32_e32 v40, v32, v57
	v_mul_f32_e32 v57, v90, v57
	;; [unrolled: 1-line block ×3, first 2 shown]
	v_fmac_f32_e32 v43, v29, v72
	v_fma_f32 v40, v90, v56, -v40
	v_fmac_f32_e32 v57, v32, v56
	v_mul_f32_e32 v32, v44, v59
	v_fma_f32 v42, v44, v58, -v42
	v_mul_f32_e32 v56, v60, v67
	v_sub_f32_e32 v43, v46, v43
	v_fmac_f32_e32 v32, v28, v58
	v_mul_f32_e32 v28, v29, v73
	v_mul_f32_e32 v44, v26, v67
	v_fmac_f32_e32 v56, v26, v66
	v_sub_f32_e32 v32, v81, v32
	v_fma_f32 v28, v45, v72, -v28
	v_fma_f32 v29, v60, v66, -v44
	v_sub_f32_e32 v59, v76, v56
	v_sub_f32_e32 v28, v38, v28
	;; [unrolled: 1-line block ×3, first 2 shown]
	v_fma_f32 v38, v38, 2.0, -v28
	v_add_f32_e32 v66, v12, v28
	v_mul_f32_e32 v45, v27, v23
	v_mul_f32_e32 v23, v61, v23
	v_fma_f32 v26, v61, v22, -v45
	v_mul_f32_e32 v44, v30, v25
	v_fmac_f32_e32 v23, v27, v22
	v_sub_f32_e32 v22, v75, v34
	v_mul_f32_e32 v25, v64, v25
	v_mul_f32_e32 v34, v31, v69
	v_fma_f32 v27, v64, v24, -v44
	v_mul_f32_e32 v45, v65, v69
	v_fma_f32 v44, v75, 2.0, -v22
	v_fmac_f32_e32 v25, v30, v24
	v_fma_f32 v24, v65, v68, -v34
	v_sub_f32_e32 v30, v22, v43
	v_fmac_f32_e32 v45, v31, v68
	v_sub_f32_e32 v34, v44, v38
	v_fma_f32 v31, v78, 2.0, -v8
	v_fma_f32 v38, v71, 2.0, -v58
	;; [unrolled: 1-line block ×3, first 2 shown]
	v_sub_f32_e32 v60, v79, v26
	v_fma_f32 v29, v44, 2.0, -v34
	v_cndmask_b32_e64 v26, 0, 0x280, s0
	v_sub_f32_e32 v61, v77, v23
	v_sub_f32_e32 v64, v57, v45
	v_fma_f32 v56, v79, 2.0, -v60
	ds_write2_b32 v47, v29, v22 offset1:40
	v_sub_f32_e32 v22, v31, v38
	v_sub_f32_e32 v29, v8, v59
	;; [unrolled: 1-line block ×3, first 2 shown]
	v_add_nc_u32_e32 v26, 0, v26
	v_sub_f32_e32 v62, v40, v24
	v_fma_f32 v31, v31, 2.0, -v22
	v_fma_f32 v8, v8, 2.0, -v29
	;; [unrolled: 1-line block ×3, first 2 shown]
	ds_write2_b32 v47, v34, v30 offset0:80 offset1:120
	ds_write2_b32 v52, v31, v8 offset1:40
	v_add3_u32 v4, v26, v10, v4
	v_sub_f32_e32 v26, v87, v70
	v_sub_f32_e32 v34, v41, v27
	;; [unrolled: 1-line block ×5, first 2 shown]
	v_fma_f32 v24, v87, 2.0, -v26
	v_fma_f32 v31, v41, 2.0, -v34
	;; [unrolled: 1-line block ×4, first 2 shown]
	ds_write2_b32 v52, v22, v29 offset0:80 offset1:120
	ds_write2_b32 v4, v10, v27 offset1:40
	v_fma_f32 v10, v89, 2.0, -v30
	v_fma_f32 v22, v40, 2.0, -v62
	v_sub_f32_e32 v27, v24, v31
	ds_write2_b32 v4, v23, v8 offset0:80 offset1:120
	v_sub_f32_e32 v8, v80, v25
	v_sub_f32_e32 v25, v30, v64
	;; [unrolled: 1-line block ×3, first 2 shown]
	v_fma_f32 v23, v24, 2.0, -v27
	v_fma_f32 v29, v46, 2.0, -v43
	v_sub_f32_e32 v24, v26, v8
	v_fma_f32 v31, v36, 2.0, -v12
	v_fma_f32 v10, v10, 2.0, -v22
	;; [unrolled: 1-line block ×3, first 2 shown]
	v_add_nc_u32_e32 v65, 0x200, v47
	v_fma_f32 v26, v26, 2.0, -v24
	v_fma_f32 v12, v12, 2.0, -v66
	ds_write2_b32 v47, v23, v10 offset0:168 offset1:184
	v_sub_f32_e32 v10, v31, v29
	ds_write2_b32 v47, v26, v30 offset0:208 offset1:224
	ds_write2_b32 v65, v27, v22 offset0:120 offset1:136
	;; [unrolled: 1-line block ×3, first 2 shown]
	s_waitcnt lgkmcnt(0)
	s_barrier
	buffer_gl0_inv
	ds_read_b32 v36, v0
	ds_read_b32 v46, v51
	ds_read_b32 v41, v50
	ds_read_b32 v45, v49
	ds_read_b32 v38, v48
	ds_read_b32 v44, v39
	ds_read_b32 v40, v52
	ds_read_b32 v43, v37
	ds_read_b32 v42, v53
	ds_read_b32 v56, v54
	ds_read2_b32 v[22:23], v47 offset0:160 offset1:176
	v_fma_f32 v67, v31, 2.0, -v10
	v_fma_f32 v59, v76, 2.0, -v59
	;; [unrolled: 1-line block ×3, first 2 shown]
	ds_read2_b32 v[24:25], v47 offset0:192 offset1:208
	ds_read2_b32 v[26:27], v47 offset0:224 offset1:240
	ds_read2_b32 v[28:29], v55 offset1:16
	ds_read2_b32 v[30:31], v55 offset0:32 offset1:48
	s_waitcnt lgkmcnt(0)
	s_barrier
	buffer_gl0_inv
	v_sub_f32_e32 v59, v68, v59
	ds_write2_b32 v47, v67, v12 offset1:40
	v_sub_f32_e32 v12, v20, v33
	v_add_f32_e32 v33, v35, v58
	v_fma_f32 v58, v77, 2.0, -v61
	v_sub_f32_e32 v61, v18, v63
	ds_write2_b32 v47, v10, v66 offset0:80 offset1:120
	v_fma_f32 v10, v68, 2.0, -v59
	v_fma_f32 v20, v20, 2.0, -v12
	;; [unrolled: 1-line block ×7, first 2 shown]
	v_sub_f32_e32 v58, v20, v58
	ds_write2_b32 v52, v10, v35 offset1:40
	v_add_f32_e32 v10, v12, v60
	v_sub_f32_e32 v8, v18, v8
	v_sub_f32_e32 v35, v63, v57
	v_add_f32_e32 v34, v61, v34
	v_add_f32_e32 v57, v32, v62
	v_fma_f32 v20, v20, 2.0, -v58
	v_fma_f32 v12, v12, 2.0, -v10
	;; [unrolled: 1-line block ×6, first 2 shown]
	ds_write2_b32 v52, v59, v33 offset0:80 offset1:120
	ds_write2_b32 v4, v20, v12 offset1:40
	ds_write2_b32 v4, v58, v10 offset0:80 offset1:120
	ds_write2_b32 v47, v18, v60 offset0:168 offset1:184
	;; [unrolled: 1-line block ×5, first 2 shown]
	s_waitcnt lgkmcnt(0)
	s_barrier
	buffer_gl0_inv
	s_and_saveexec_b32 s0, vcc_lo
	s_cbranch_execz .LBB0_15
; %bb.14:
	v_mov_b32_e32 v20, v21
	v_mov_b32_e32 v18, v21
	;; [unrolled: 1-line block ×5, first 2 shown]
	v_lshlrev_b64 v[19:20], 3, v[19:20]
	v_lshlrev_b64 v[17:18], 3, v[17:18]
	;; [unrolled: 1-line block ×4, first 2 shown]
	v_mov_b32_e32 v4, v21
	v_lshlrev_b64 v[7:8], 3, v[7:8]
	v_add_co_u32 v19, vcc_lo, s12, v19
	v_add_co_ci_u32_e32 v20, vcc_lo, s13, v20, vcc_lo
	v_add_co_u32 v17, vcc_lo, s12, v17
	v_add_co_ci_u32_e32 v18, vcc_lo, s13, v18, vcc_lo
	v_lshlrev_b64 v[59:60], 3, v[3:4]
	s_clause 0x1
	global_load_dwordx2 v[32:33], v[19:20], off offset:1200
	global_load_dwordx2 v[18:19], v[17:18], off offset:1200
	v_mov_b32_e32 v17, v21
	v_mul_lo_u32 v6, s2, v6
	v_add_nc_u32_e32 v67, 32, v3
	v_add_nc_u32_e32 v68, 48, v3
	;; [unrolled: 1-line block ×3, first 2 shown]
	v_lshlrev_b64 v[16:17], 3, v[16:17]
	v_add_nc_u32_e32 v83, 0x80, v3
	v_mul_hi_u32 v74, 0xcccccccd, v67
	v_add_nc_u32_e32 v69, 64, v3
	v_add_nc_u32_e32 v70, 0x50, v3
	v_mul_hi_u32 v20, 0xcccccccd, v3
	v_add_co_u32 v34, vcc_lo, s12, v16
	v_mov_b32_e32 v16, v21
	v_add_co_ci_u32_e32 v35, vcc_lo, s13, v17, vcc_lo
	v_add_nc_u32_e32 v84, 0x90, v3
	v_mul_hi_u32 v75, 0xcccccccd, v68
	v_lshlrev_b64 v[15:16], 3, v[15:16]
	global_load_dwordx2 v[34:35], v[34:35], off offset:1200
	v_mul_hi_u32 v76, 0xcccccccd, v69
	v_add_nc_u32_e32 v71, 0x60, v3
	v_mul_hi_u32 v77, 0xcccccccd, v70
	v_mul_hi_u32 v79, 0xcccccccd, v84
	v_add_co_u32 v57, vcc_lo, s12, v15
	v_add_co_ci_u32_e32 v58, vcc_lo, s13, v16, vcc_lo
	v_mov_b32_e32 v15, v21
	v_lshrrev_b32_e32 v74, 7, v74
	v_lshrrev_b32_e32 v20, 7, v20
	global_load_dwordx2 v[16:17], v[57:58], off offset:1200
	v_lshrrev_b32_e32 v75, 7, v75
	v_lshlrev_b64 v[57:58], 3, v[14:15]
	v_mov_b32_e32 v14, v21
	v_mul_lo_u32 v15, s3, v5
	v_mad_u64_u32 v[4:5], null, s2, v5, 0
	v_mul_hi_u32 v78, 0xcccccccd, v71
	v_lshlrev_b64 v[13:14], 3, v[13:14]
	v_add_co_u32 v57, vcc_lo, s12, v57
	v_add_co_ci_u32_e32 v58, vcc_lo, s13, v58, vcc_lo
	v_add3_u32 v5, v5, v6, v15
	v_add_co_u32 v13, vcc_lo, s12, v13
	v_add_co_ci_u32_e32 v14, vcc_lo, s13, v14, vcc_lo
	v_add_co_u32 v11, vcc_lo, s12, v11
	v_add_co_ci_u32_e32 v12, vcc_lo, s13, v12, vcc_lo
	global_load_dwordx2 v[13:14], v[13:14], off offset:1200
	v_add_co_u32 v9, vcc_lo, s12, v9
	global_load_dwordx2 v[11:12], v[11:12], off offset:1200
	v_add_co_ci_u32_e32 v10, vcc_lo, s13, v10, vcc_lo
	v_add_co_u32 v7, vcc_lo, s12, v7
	v_add_co_ci_u32_e32 v8, vcc_lo, s13, v8, vcc_lo
	global_load_dwordx2 v[9:10], v[9:10], off offset:1200
	v_add_co_u32 v59, vcc_lo, s12, v59
	v_add_co_ci_u32_e32 v60, vcc_lo, s13, v60, vcc_lo
	s_clause 0x2
	global_load_dwordx2 v[57:58], v[57:58], off offset:1200
	global_load_dwordx2 v[7:8], v[7:8], off offset:1200
	;; [unrolled: 1-line block ×3, first 2 shown]
	ds_read2_b32 v[61:62], v55 offset0:32 offset1:48
	ds_read2_b32 v[63:64], v55 offset1:16
	ds_read2_b32 v[65:66], v47 offset0:224 offset1:240
	v_add_nc_u32_e32 v55, 16, v3
	v_mul_hi_u32 v6, 0xcccccccd, v72
	v_mul_hi_u32 v15, 0xcccccccd, v83
	v_lshlrev_b64 v[4:5], 3, v[4:5]
	v_lshlrev_b64 v[1:2], 3, v[1:2]
	v_mul_hi_u32 v73, 0xcccccccd, v55
	v_lshrrev_b32_e32 v76, 7, v76
	v_lshrrev_b32_e32 v77, 7, v77
	v_mul_lo_u32 v20, 0xa0, v20
	v_lshrrev_b32_e32 v80, 7, v6
	v_lshrrev_b32_e32 v85, 7, v15
	v_mul_lo_u32 v15, 0xa0, v74
	v_add_co_u32 v4, vcc_lo, s10, v4
	v_lshrrev_b32_e32 v73, 7, v73
	v_lshrrev_b32_e32 v86, 7, v79
	v_mul_lo_u32 v79, 0xa0, v75
	v_add_co_ci_u32_e32 v5, vcc_lo, s11, v5, vcc_lo
	v_mul_lo_u32 v6, 0xa0, v73
	v_mul_lo_u32 v81, 0xa0, v76
	v_add_co_u32 v92, vcc_lo, v4, v1
	v_lshrrev_b32_e32 v78, 7, v78
	v_mul_lo_u32 v82, 0xa0, v77
	v_add_co_ci_u32_e32 v93, vcc_lo, v5, v2, vcc_lo
	v_sub_nc_u32_e32 v1, v55, v6
	v_sub_nc_u32_e32 v2, v67, v15
	;; [unrolled: 1-line block ×4, first 2 shown]
	v_mul_lo_u32 v87, 0xa0, v78
	v_mul_lo_u32 v88, 0xa0, v80
	v_mad_u64_u32 v[67:68], null, 0x140, v73, v[1:2]
	v_sub_nc_u32_e32 v4, v69, v81
	v_sub_nc_u32_e32 v5, v70, v82
	v_mad_u64_u32 v[1:2], null, 0x140, v74, v[2:3]
	v_mov_b32_e32 v68, v21
	v_mad_u64_u32 v[69:70], null, 0x140, v75, v[3:4]
	v_mov_b32_e32 v2, v21
	v_sub_nc_u32_e32 v6, v71, v87
	v_sub_nc_u32_e32 v15, v72, v88
	v_mad_u64_u32 v[3:4], null, 0x140, v76, v[4:5]
	v_lshlrev_b64 v[75:76], 3, v[67:68]
	v_mov_b32_e32 v70, v21
	v_add_nc_u32_e32 v20, 0xa0, v67
	v_mov_b32_e32 v4, v21
	v_lshlrev_b64 v[67:68], 3, v[1:2]
	v_mad_u64_u32 v[71:72], null, 0x140, v77, v[5:6]
	v_lshlrev_b64 v[81:82], 3, v[20:21]
	v_add_nc_u32_e32 v20, 0xa0, v1
	v_add_co_u32 v1, vcc_lo, v92, v75
	v_mov_b32_e32 v72, v21
	v_mul_lo_u32 v89, 0xa0, v85
	ds_read_b32 v95, v54
	ds_read_b32 v96, v53
	v_mul_lo_u32 v91, 0xa0, v86
	s_waitcnt vmcnt(9) lgkmcnt(4)
	v_mul_f32_e32 v2, v62, v33
	v_mul_f32_e32 v55, v31, v33
	s_waitcnt vmcnt(8)
	v_mul_f32_e32 v87, v30, v19
	v_fma_f32 v88, v31, v32, -v2
	v_add_co_ci_u32_e32 v2, vcc_lo, v93, v76, vcc_lo
	v_add_co_u32 v67, vcc_lo, v92, v67
	v_add_co_ci_u32_e32 v68, vcc_lo, v93, v68, vcc_lo
	v_fmac_f32_e32 v55, v62, v32
	v_lshlrev_b64 v[31:32], 3, v[71:72]
	v_fmac_f32_e32 v87, v61, v18
	s_waitcnt vmcnt(6)
	v_mad_u64_u32 v[73:74], null, 0x140, v80, v[15:16]
	v_mov_b32_e32 v74, v21
	v_lshlrev_b64 v[79:80], 3, v[3:4]
	v_mul_f32_e32 v4, v61, v19
	v_sub_nc_u32_e32 v15, v83, v89
	v_fma_f32 v94, v30, v18, -v4
	v_lshlrev_b64 v[18:19], 3, v[73:74]
	v_mad_u64_u32 v[53:54], null, 0x140, v85, v[15:16]
	v_lshlrev_b32_e32 v15, 3, v90
	v_mov_b32_e32 v54, v21
	s_waitcnt vmcnt(1)
	v_mad_u64_u32 v[5:6], null, 0x140, v78, v[6:7]
	v_lshlrev_b64 v[77:78], 3, v[69:70]
	v_mov_b32_e32 v6, v21
	v_add_co_u32 v74, vcc_lo, v92, v77
	v_add_co_ci_u32_e32 v75, vcc_lo, v93, v78, vcc_lo
	v_lshlrev_b64 v[61:62], 3, v[5:6]
	v_add_co_u32 v76, vcc_lo, v92, v79
	v_add_co_ci_u32_e32 v77, vcc_lo, v93, v80, vcc_lo
	v_add_co_u32 v30, vcc_lo, v92, v31
	v_add_co_ci_u32_e32 v31, vcc_lo, v93, v32, vcc_lo
	;; [unrolled: 2-line block ×3, first 2 shown]
	v_lshlrev_b64 v[61:62], 3, v[20:21]
	v_add_nc_u32_e32 v20, 0xa0, v69
	v_add_co_u32 v18, vcc_lo, v92, v18
	v_add_co_ci_u32_e32 v19, vcc_lo, v93, v19, vcc_lo
	v_add_co_u32 v69, vcc_lo, v92, v81
	v_lshlrev_b64 v[78:79], 3, v[20:21]
	v_add_nc_u32_e32 v20, 0xa0, v3
	v_add_co_ci_u32_e32 v70, vcc_lo, v93, v82, vcc_lo
	v_add_co_u32 v3, vcc_lo, v92, v61
	v_add_co_ci_u32_e32 v4, vcc_lo, v93, v62, vcc_lo
	v_lshlrev_b64 v[61:62], 3, v[20:21]
	v_add_nc_u32_e32 v20, 0xa0, v71
	v_add_co_u32 v71, vcc_lo, v92, v78
	v_add_co_ci_u32_e32 v72, vcc_lo, v93, v79, vcc_lo
	v_lshlrev_b64 v[78:79], 3, v[20:21]
	v_add_nc_u32_e32 v20, 0xa0, v5
	;; [unrolled: 4-line block ×3, first 2 shown]
	v_mul_f32_e32 v73, v29, v35
	s_waitcnt lgkmcnt(3)
	v_mul_f32_e32 v35, v64, v35
	ds_read2_b32 v[80:81], v47 offset0:160 offset1:176
	v_add_co_u32 v78, vcc_lo, v92, v78
	v_fmac_f32_e32 v73, v64, v34
	v_fma_f32 v64, v29, v34, -v35
	ds_read2_b32 v[34:35], v47 offset0:192 offset1:208
	v_sub_nc_u32_e32 v29, v84, v91
	v_mul_f32_e32 v84, v28, v17
	v_mul_f32_e32 v17, v63, v17
	v_add_co_ci_u32_e32 v79, vcc_lo, v93, v79, vcc_lo
	v_mad_u64_u32 v[82:83], null, 0x140, v86, v[29:30]
	ds_read_b32 v85, v51
	ds_read_b32 v86, v50
	;; [unrolled: 1-line block ×8, first 2 shown]
	v_fmac_f32_e32 v84, v63, v16
	v_fma_f32 v17, v28, v16, -v17
	v_mul_f32_e32 v63, v27, v58
	s_waitcnt lgkmcnt(12)
	v_mul_f32_e32 v49, v66, v58
	v_lshlrev_b64 v[28:29], 3, v[20:21]
	v_mul_f32_e32 v58, v26, v14
	v_add_nc_u32_e32 v20, 0xa0, v53
	v_mul_f32_e32 v14, v65, v14
	v_add_co_u32 v47, vcc_lo, v92, v15
	v_add_co_ci_u32_e32 v48, vcc_lo, 0, v93, vcc_lo
	v_lshlrev_b64 v[51:52], 3, v[20:21]
	v_fma_f32 v14, v26, v13, -v14
	v_mul_f32_e32 v20, v25, v12
	s_waitcnt lgkmcnt(8)
	v_mul_f32_e32 v26, v35, v12
	v_add_co_u32 v15, vcc_lo, v92, v61
	v_add_co_ci_u32_e32 v16, vcc_lo, v93, v62, vcc_lo
	v_fmac_f32_e32 v63, v66, v57
	v_fma_f32 v57, v27, v57, -v49
	v_lshlrev_b64 v[49:50], 3, v[53:54]
	v_mul_f32_e32 v53, v24, v10
	v_mul_f32_e32 v10, v34, v10
	v_fmac_f32_e32 v20, v35, v11
	v_fma_f32 v11, v25, v11, -v26
	s_waitcnt vmcnt(0)
	v_mul_f32_e32 v62, v22, v60
	v_mul_f32_e32 v25, v80, v60
	;; [unrolled: 1-line block ×4, first 2 shown]
	v_fmac_f32_e32 v53, v34, v9
	v_fma_f32 v60, v24, v9, -v10
	v_fmac_f32_e32 v62, v80, v59
	v_fma_f32 v59, v22, v59, -v25
	v_fmac_f32_e32 v58, v65, v13
	v_fmac_f32_e32 v61, v81, v7
	v_fma_f32 v65, v23, v7, -v8
	v_add_co_u32 v12, vcc_lo, v92, v28
	s_waitcnt lgkmcnt(4)
	v_sub_f32_e32 v54, v90, v53
	v_sub_f32_e32 v53, v38, v60
	s_waitcnt lgkmcnt(0)
	v_sub_f32_e32 v60, v0, v62
	v_sub_f32_e32 v59, v36, v59
	v_add_co_ci_u32_e32 v13, vcc_lo, v93, v29, vcc_lo
	v_sub_f32_e32 v24, v44, v17
	v_sub_f32_e32 v27, v37, v63
	;; [unrolled: 1-line block ×7, first 2 shown]
	v_mov_b32_e32 v83, v21
	v_sub_f32_e32 v9, v46, v94
	v_sub_f32_e32 v23, v89, v73
	;; [unrolled: 1-line block ×6, first 2 shown]
	v_fma_f32 v81, v0, 2.0, -v60
	v_fma_f32 v80, v36, 2.0, -v59
	;; [unrolled: 1-line block ×6, first 2 shown]
	v_add_nc_u32_e32 v20, 0xa0, v82
	v_fma_f32 v64, v39, 2.0, -v25
	v_fma_f32 v39, v90, 2.0, -v54
	;; [unrolled: 1-line block ×3, first 2 shown]
	v_sub_f32_e32 v8, v95, v55
	v_fma_f32 v55, v46, 2.0, -v9
	v_fma_f32 v46, v89, 2.0, -v23
	;; [unrolled: 1-line block ×8, first 2 shown]
	global_store_dwordx2 v[47:48], v[59:60], off offset:1280
	global_store_dwordx2 v[47:48], v[80:81], off
	global_store_dwordx2 v[1:2], v[36:37], off
	;; [unrolled: 1-line block ×14, first 2 shown]
	v_add_co_u32 v0, vcc_lo, v92, v49
	v_lshlrev_b64 v[2:3], 3, v[82:83]
	v_add_co_ci_u32_e32 v1, vcc_lo, v93, v50, vcc_lo
	v_sub_f32_e32 v7, v56, v88
	v_sub_f32_e32 v10, v85, v87
	v_add_co_u32 v4, vcc_lo, v92, v51
	v_lshlrev_b64 v[14:15], 3, v[20:21]
	v_add_co_ci_u32_e32 v5, vcc_lo, v93, v52, vcc_lo
	v_add_co_u32 v2, vcc_lo, v92, v2
	v_fma_f32 v61, v56, 2.0, -v7
	v_fma_f32 v56, v85, 2.0, -v10
	v_add_co_ci_u32_e32 v3, vcc_lo, v93, v3, vcc_lo
	v_add_co_u32 v14, vcc_lo, v92, v14
	v_fma_f32 v62, v95, 2.0, -v8
	v_add_co_ci_u32_e32 v15, vcc_lo, v93, v15, vcc_lo
	global_store_dwordx2 v[12:13], v[22:23], off
	global_store_dwordx2 v[0:1], v[55:56], off
	;; [unrolled: 1-line block ×5, first 2 shown]
.LBB0_15:
	s_endpgm
	.section	.rodata,"a",@progbits
	.p2align	6, 0x0
	.amdhsa_kernel fft_rtc_fwd_len320_factors_10_4_4_2_wgs_64_tpt_16_halfLds_sp_op_CI_CI_unitstride_sbrr_dirReg
		.amdhsa_group_segment_fixed_size 0
		.amdhsa_private_segment_fixed_size 0
		.amdhsa_kernarg_size 104
		.amdhsa_user_sgpr_count 6
		.amdhsa_user_sgpr_private_segment_buffer 1
		.amdhsa_user_sgpr_dispatch_ptr 0
		.amdhsa_user_sgpr_queue_ptr 0
		.amdhsa_user_sgpr_kernarg_segment_ptr 1
		.amdhsa_user_sgpr_dispatch_id 0
		.amdhsa_user_sgpr_flat_scratch_init 0
		.amdhsa_user_sgpr_private_segment_size 0
		.amdhsa_wavefront_size32 1
		.amdhsa_uses_dynamic_stack 0
		.amdhsa_system_sgpr_private_segment_wavefront_offset 0
		.amdhsa_system_sgpr_workgroup_id_x 1
		.amdhsa_system_sgpr_workgroup_id_y 0
		.amdhsa_system_sgpr_workgroup_id_z 0
		.amdhsa_system_sgpr_workgroup_info 0
		.amdhsa_system_vgpr_workitem_id 0
		.amdhsa_next_free_vgpr 97
		.amdhsa_next_free_sgpr 27
		.amdhsa_reserve_vcc 1
		.amdhsa_reserve_flat_scratch 0
		.amdhsa_float_round_mode_32 0
		.amdhsa_float_round_mode_16_64 0
		.amdhsa_float_denorm_mode_32 3
		.amdhsa_float_denorm_mode_16_64 3
		.amdhsa_dx10_clamp 1
		.amdhsa_ieee_mode 1
		.amdhsa_fp16_overflow 0
		.amdhsa_workgroup_processor_mode 1
		.amdhsa_memory_ordered 1
		.amdhsa_forward_progress 0
		.amdhsa_shared_vgpr_count 0
		.amdhsa_exception_fp_ieee_invalid_op 0
		.amdhsa_exception_fp_denorm_src 0
		.amdhsa_exception_fp_ieee_div_zero 0
		.amdhsa_exception_fp_ieee_overflow 0
		.amdhsa_exception_fp_ieee_underflow 0
		.amdhsa_exception_fp_ieee_inexact 0
		.amdhsa_exception_int_div_zero 0
	.end_amdhsa_kernel
	.text
.Lfunc_end0:
	.size	fft_rtc_fwd_len320_factors_10_4_4_2_wgs_64_tpt_16_halfLds_sp_op_CI_CI_unitstride_sbrr_dirReg, .Lfunc_end0-fft_rtc_fwd_len320_factors_10_4_4_2_wgs_64_tpt_16_halfLds_sp_op_CI_CI_unitstride_sbrr_dirReg
                                        ; -- End function
	.section	.AMDGPU.csdata,"",@progbits
; Kernel info:
; codeLenInByte = 9344
; NumSgprs: 29
; NumVgprs: 97
; ScratchSize: 0
; MemoryBound: 0
; FloatMode: 240
; IeeeMode: 1
; LDSByteSize: 0 bytes/workgroup (compile time only)
; SGPRBlocks: 3
; VGPRBlocks: 12
; NumSGPRsForWavesPerEU: 29
; NumVGPRsForWavesPerEU: 97
; Occupancy: 9
; WaveLimiterHint : 1
; COMPUTE_PGM_RSRC2:SCRATCH_EN: 0
; COMPUTE_PGM_RSRC2:USER_SGPR: 6
; COMPUTE_PGM_RSRC2:TRAP_HANDLER: 0
; COMPUTE_PGM_RSRC2:TGID_X_EN: 1
; COMPUTE_PGM_RSRC2:TGID_Y_EN: 0
; COMPUTE_PGM_RSRC2:TGID_Z_EN: 0
; COMPUTE_PGM_RSRC2:TIDIG_COMP_CNT: 0
	.text
	.p2alignl 6, 3214868480
	.fill 48, 4, 3214868480
	.type	__hip_cuid_f2275e58b3c722c,@object ; @__hip_cuid_f2275e58b3c722c
	.section	.bss,"aw",@nobits
	.globl	__hip_cuid_f2275e58b3c722c
__hip_cuid_f2275e58b3c722c:
	.byte	0                               ; 0x0
	.size	__hip_cuid_f2275e58b3c722c, 1

	.ident	"AMD clang version 19.0.0git (https://github.com/RadeonOpenCompute/llvm-project roc-6.4.0 25133 c7fe45cf4b819c5991fe208aaa96edf142730f1d)"
	.section	".note.GNU-stack","",@progbits
	.addrsig
	.addrsig_sym __hip_cuid_f2275e58b3c722c
	.amdgpu_metadata
---
amdhsa.kernels:
  - .args:
      - .actual_access:  read_only
        .address_space:  global
        .offset:         0
        .size:           8
        .value_kind:     global_buffer
      - .offset:         8
        .size:           8
        .value_kind:     by_value
      - .actual_access:  read_only
        .address_space:  global
        .offset:         16
        .size:           8
        .value_kind:     global_buffer
      - .actual_access:  read_only
        .address_space:  global
        .offset:         24
        .size:           8
        .value_kind:     global_buffer
      - .actual_access:  read_only
        .address_space:  global
        .offset:         32
        .size:           8
        .value_kind:     global_buffer
      - .offset:         40
        .size:           8
        .value_kind:     by_value
      - .actual_access:  read_only
        .address_space:  global
        .offset:         48
        .size:           8
        .value_kind:     global_buffer
      - .actual_access:  read_only
        .address_space:  global
        .offset:         56
        .size:           8
        .value_kind:     global_buffer
      - .offset:         64
        .size:           4
        .value_kind:     by_value
      - .actual_access:  read_only
        .address_space:  global
        .offset:         72
        .size:           8
        .value_kind:     global_buffer
      - .actual_access:  read_only
        .address_space:  global
        .offset:         80
        .size:           8
        .value_kind:     global_buffer
      - .actual_access:  read_only
        .address_space:  global
        .offset:         88
        .size:           8
        .value_kind:     global_buffer
      - .actual_access:  write_only
        .address_space:  global
        .offset:         96
        .size:           8
        .value_kind:     global_buffer
    .group_segment_fixed_size: 0
    .kernarg_segment_align: 8
    .kernarg_segment_size: 104
    .language:       OpenCL C
    .language_version:
      - 2
      - 0
    .max_flat_workgroup_size: 64
    .name:           fft_rtc_fwd_len320_factors_10_4_4_2_wgs_64_tpt_16_halfLds_sp_op_CI_CI_unitstride_sbrr_dirReg
    .private_segment_fixed_size: 0
    .sgpr_count:     29
    .sgpr_spill_count: 0
    .symbol:         fft_rtc_fwd_len320_factors_10_4_4_2_wgs_64_tpt_16_halfLds_sp_op_CI_CI_unitstride_sbrr_dirReg.kd
    .uniform_work_group_size: 1
    .uses_dynamic_stack: false
    .vgpr_count:     97
    .vgpr_spill_count: 0
    .wavefront_size: 32
    .workgroup_processor_mode: 1
amdhsa.target:   amdgcn-amd-amdhsa--gfx1030
amdhsa.version:
  - 1
  - 2
...

	.end_amdgpu_metadata
